;; amdgpu-corpus repo=ROCm/rocFFT kind=compiled arch=gfx950 opt=O3
	.text
	.amdgcn_target "amdgcn-amd-amdhsa--gfx950"
	.amdhsa_code_object_version 6
	.protected	fft_rtc_fwd_len104_factors_13_8_wgs_208_tpt_13_sp_op_CI_CI_sbcc_twdbase6_3step_dirReg_intrinsicRead ; -- Begin function fft_rtc_fwd_len104_factors_13_8_wgs_208_tpt_13_sp_op_CI_CI_sbcc_twdbase6_3step_dirReg_intrinsicRead
	.globl	fft_rtc_fwd_len104_factors_13_8_wgs_208_tpt_13_sp_op_CI_CI_sbcc_twdbase6_3step_dirReg_intrinsicRead
	.p2align	8
	.type	fft_rtc_fwd_len104_factors_13_8_wgs_208_tpt_13_sp_op_CI_CI_sbcc_twdbase6_3step_dirReg_intrinsicRead,@function
fft_rtc_fwd_len104_factors_13_8_wgs_208_tpt_13_sp_op_CI_CI_sbcc_twdbase6_3step_dirReg_intrinsicRead: ; @fft_rtc_fwd_len104_factors_13_8_wgs_208_tpt_13_sp_op_CI_CI_sbcc_twdbase6_3step_dirReg_intrinsicRead
; %bb.0:
	s_load_dwordx8 s[4:11], s[0:1], 0x8
	s_load_dwordx2 s[28:29], s[0:1], 0x28
	s_movk_i32 s3, 0xc0
	v_cmp_gt_u32_e32 vcc, s3, v0
	s_and_saveexec_b64 s[12:13], vcc
	s_cbranch_execz .LBB0_2
; %bb.1:
	v_lshlrev_b32_e32 v1, 3, v0
	s_waitcnt lgkmcnt(0)
	global_load_dwordx2 v[2:3], v1, s[4:5]
	v_add_u32_e32 v1, 0, v1
	s_waitcnt vmcnt(0)
	ds_write_b64 v1, v[2:3] offset:13312
.LBB0_2:
	s_or_b64 exec, exec, s[12:13]
	s_waitcnt lgkmcnt(0)
	s_load_dwordx2 s[26:27], s[8:9], 0x8
	s_mov_b32 s3, 0
	s_mov_b64 s[24:25], 0
	s_waitcnt lgkmcnt(0)
	s_add_u32 s4, s26, -1
	s_addc_u32 s5, s27, -1
	s_lshr_b64 s[4:5], s[4:5], 4
	s_add_u32 s30, s4, 1
	s_addc_u32 s31, s5, 0
	v_mov_b64_e32 v[2:3], s[30:31]
	v_cmp_lt_u64_e32 vcc, s[2:3], v[2:3]
	s_cbranch_vccnz .LBB0_4
; %bb.3:
	v_cvt_f32_u32_e32 v1, s30
	s_sub_i32 s4, 0, s30
	s_mov_b32 s25, s3
	v_rcp_iflag_f32_e32 v1, v1
	s_nop 0
	v_mul_f32_e32 v1, 0x4f7ffffe, v1
	v_cvt_u32_f32_e32 v1, v1
	s_nop 0
	v_readfirstlane_b32 s5, v1
	s_mul_i32 s4, s4, s5
	s_mul_hi_u32 s4, s5, s4
	s_add_i32 s5, s5, s4
	s_mul_hi_u32 s4, s2, s5
	s_mul_i32 s12, s4, s30
	s_sub_i32 s12, s2, s12
	s_add_i32 s5, s4, 1
	s_sub_i32 s13, s12, s30
	s_cmp_ge_u32 s12, s30
	s_cselect_b32 s4, s5, s4
	s_cselect_b32 s12, s13, s12
	s_add_i32 s5, s4, 1
	s_cmp_ge_u32 s12, s30
	s_cselect_b32 s24, s5, s4
.LBB0_4:
	s_load_dwordx4 s[16:19], s[0:1], 0x60
	s_load_dwordx2 s[4:5], s[0:1], 0x0
	s_load_dwordx4 s[20:23], s[10:11], 0x0
	s_load_dwordx4 s[12:15], s[28:29], 0x0
	s_mul_i32 s0, s24, s31
	s_mul_hi_u32 s1, s24, s30
	s_add_i32 s1, s1, s0
	s_mul_i32 s0, s24, s30
	s_sub_u32 s0, s2, s0
	s_subb_u32 s1, 0, s1
	v_mov_b32_e32 v1, s0
	s_lshl_b64 s[34:35], s[0:1], 4
	v_alignbit_b32 v1, s1, v1, 28
	s_waitcnt lgkmcnt(0)
	v_mul_lo_u32 v2, s22, v1
	s_mul_hi_u32 s0, s22, s34
	v_add_u32_e32 v2, s0, v2
	s_mul_i32 s0, s23, s34
	v_add_u32_e32 v3, s0, v2
	s_mul_i32 s0, s22, s34
	v_mov_b32_e32 v2, s0
	v_mul_lo_u32 v1, s14, v1
	s_mul_hi_u32 s0, s14, s34
	v_add_u32_e32 v1, s0, v1
	s_mul_i32 s0, s15, s34
	v_add_u32_e32 v31, s0, v1
	s_mul_i32 s0, s14, s34
	v_mov_b32_e32 v30, s0
	v_cmp_lt_u64_e64 s[0:1], s[6:7], 3
	s_and_b64 vcc, exec, s[0:1]
	s_cbranch_vccnz .LBB0_13
; %bb.5:
	s_add_u32 s36, s28, 16
	s_addc_u32 s37, s29, 0
	s_add_u32 s38, s10, 16
	s_addc_u32 s39, s11, 0
	;; [unrolled: 2-line block ×3, first 2 shown]
	s_mov_b64 s[40:41], 2
	s_mov_b32 s42, 0
	v_mov_b64_e32 v[4:5], s[6:7]
	s_branch .LBB0_7
.LBB0_6:                                ;   in Loop: Header=BB0_7 Depth=1
	s_mul_i32 s21, s44, s31
	s_mul_hi_u32 s23, s44, s30
	s_add_i32 s21, s23, s21
	s_mul_i32 s23, s45, s30
	s_add_i32 s31, s21, s23
	s_mul_i32 s21, s0, s45
	s_mul_hi_u32 s23, s0, s44
	s_load_dwordx2 s[46:47], s[38:39], 0x0
	s_add_i32 s21, s23, s21
	s_mul_i32 s23, s1, s44
	s_add_i32 s21, s21, s23
	s_mul_i32 s23, s0, s44
	s_sub_u32 s23, s24, s23
	s_subb_u32 s21, s25, s21
	s_waitcnt lgkmcnt(0)
	s_mul_i32 s24, s46, s21
	s_mul_hi_u32 s25, s46, s23
	s_add_i32 s33, s25, s24
	s_load_dwordx2 s[24:25], s[36:37], 0x0
	s_mul_i32 s43, s47, s23
	s_add_i32 s45, s33, s43
	s_mul_i32 s30, s44, s30
	s_mul_i32 s44, s46, s23
	s_waitcnt lgkmcnt(0)
	s_mul_i32 s21, s24, s21
	s_mul_hi_u32 s33, s24, s23
	s_add_i32 s21, s33, s21
	s_mul_i32 s25, s25, s23
	s_add_i32 s25, s21, s25
	s_add_u32 s40, s40, 1
	s_addc_u32 s41, s41, 0
	s_add_u32 s36, s36, 8
	s_addc_u32 s37, s37, 0
	;; [unrolled: 2-line block ×3, first 2 shown]
	s_mul_i32 s24, s24, s23
	s_add_u32 s8, s8, 8
	v_cmp_ge_u64_e32 vcc, s[40:41], v[4:5]
	v_lshl_add_u64 v[2:3], s[44:45], 0, v[2:3]
	v_lshl_add_u64 v[30:31], s[24:25], 0, v[30:31]
	s_addc_u32 s9, s9, 0
	s_mov_b64 s[24:25], s[0:1]
	s_cbranch_vccnz .LBB0_11
.LBB0_7:                                ; =>This Inner Loop Header: Depth=1
	s_load_dwordx2 s[44:45], s[8:9], 0x0
	s_waitcnt lgkmcnt(0)
	s_or_b64 s[0:1], s[24:25], s[44:45]
	s_mov_b32 s43, s1
	s_cmp_lg_u64 s[42:43], 0
	s_cbranch_scc0 .LBB0_9
; %bb.8:                                ;   in Loop: Header=BB0_7 Depth=1
	v_cvt_f32_u32_e32 v1, s44
	v_cvt_f32_u32_e32 v6, s45
	s_sub_u32 s0, 0, s44
	s_subb_u32 s1, 0, s45
	v_fmac_f32_e32 v1, 0x4f800000, v6
	v_rcp_f32_e32 v1, v1
	s_nop 0
	v_mul_f32_e32 v1, 0x5f7ffffc, v1
	v_mul_f32_e32 v6, 0x2f800000, v1
	v_trunc_f32_e32 v6, v6
	v_fmac_f32_e32 v1, 0xcf800000, v6
	v_cvt_u32_f32_e32 v6, v6
	v_cvt_u32_f32_e32 v1, v1
	v_readfirstlane_b32 s21, v6
	v_readfirstlane_b32 s23, v1
	s_mul_i32 s33, s0, s21
	s_mul_hi_u32 s46, s0, s23
	s_mul_i32 s43, s1, s23
	s_add_i32 s33, s46, s33
	s_mul_i32 s47, s0, s23
	s_add_i32 s33, s33, s43
	s_mul_hi_u32 s43, s23, s33
	s_mul_i32 s46, s23, s33
	s_mul_hi_u32 s23, s23, s47
	s_add_u32 s23, s23, s46
	s_addc_u32 s43, 0, s43
	s_mul_hi_u32 s48, s21, s47
	s_mul_i32 s47, s21, s47
	s_add_u32 s23, s23, s47
	s_mul_hi_u32 s46, s21, s33
	s_addc_u32 s23, s43, s48
	s_addc_u32 s43, s46, 0
	s_mul_i32 s33, s21, s33
	s_add_u32 s23, s23, s33
	s_addc_u32 s33, 0, s43
	v_add_co_u32_e32 v1, vcc, s23, v1
	s_cmp_lg_u64 vcc, 0
	s_addc_u32 s21, s21, s33
	v_readfirstlane_b32 s33, v1
	s_mul_i32 s23, s0, s21
	s_mul_hi_u32 s43, s0, s33
	s_add_i32 s23, s43, s23
	s_mul_i32 s1, s1, s33
	s_add_i32 s23, s23, s1
	s_mul_i32 s0, s0, s33
	s_mul_hi_u32 s43, s21, s0
	s_mul_i32 s46, s21, s0
	s_mul_i32 s48, s33, s23
	s_mul_hi_u32 s0, s33, s0
	s_mul_hi_u32 s47, s33, s23
	s_add_u32 s0, s0, s48
	s_addc_u32 s33, 0, s47
	s_add_u32 s0, s0, s46
	s_mul_hi_u32 s1, s21, s23
	s_addc_u32 s0, s33, s43
	s_addc_u32 s1, s1, 0
	s_mul_i32 s23, s21, s23
	s_add_u32 s0, s0, s23
	s_addc_u32 s1, 0, s1
	v_add_co_u32_e32 v1, vcc, s0, v1
	s_cmp_lg_u64 vcc, 0
	s_addc_u32 s0, s21, s1
	v_readfirstlane_b32 s23, v1
	s_mul_i32 s21, s24, s0
	s_mul_hi_u32 s33, s24, s23
	s_mul_hi_u32 s1, s24, s0
	s_add_u32 s21, s33, s21
	s_addc_u32 s1, 0, s1
	s_mul_hi_u32 s43, s25, s23
	s_mul_i32 s23, s25, s23
	s_add_u32 s21, s21, s23
	s_mul_hi_u32 s33, s25, s0
	s_addc_u32 s1, s1, s43
	s_addc_u32 s21, s33, 0
	s_mul_i32 s0, s25, s0
	s_add_u32 s23, s1, s0
	s_addc_u32 s21, 0, s21
	s_mul_i32 s0, s44, s21
	s_mul_hi_u32 s1, s44, s23
	s_add_i32 s0, s1, s0
	s_mul_i32 s1, s45, s23
	s_add_i32 s33, s0, s1
	s_mul_i32 s1, s44, s23
	v_mov_b32_e32 v1, s1
	s_sub_i32 s0, s25, s33
	v_sub_co_u32_e32 v1, vcc, s24, v1
	s_cmp_lg_u64 vcc, 0
	s_subb_u32 s43, s0, s45
	v_subrev_co_u32_e64 v6, s[0:1], s44, v1
	s_cmp_lg_u64 s[0:1], 0
	s_subb_u32 s0, s43, 0
	s_cmp_ge_u32 s0, s45
	v_readfirstlane_b32 s43, v6
	s_cselect_b32 s1, -1, 0
	s_cmp_ge_u32 s43, s44
	s_cselect_b32 s43, -1, 0
	s_cmp_eq_u32 s0, s45
	s_cselect_b32 s0, s43, s1
	s_add_u32 s1, s23, 1
	s_addc_u32 s43, s21, 0
	s_add_u32 s46, s23, 2
	s_addc_u32 s47, s21, 0
	s_cmp_lg_u32 s0, 0
	s_cselect_b32 s0, s46, s1
	s_cselect_b32 s1, s47, s43
	s_cmp_lg_u64 vcc, 0
	s_subb_u32 s33, s25, s33
	s_cmp_ge_u32 s33, s45
	v_readfirstlane_b32 s46, v1
	s_cselect_b32 s43, -1, 0
	s_cmp_ge_u32 s46, s44
	s_cselect_b32 s46, -1, 0
	s_cmp_eq_u32 s33, s45
	s_cselect_b32 s33, s46, s43
	s_cmp_lg_u32 s33, 0
	s_cselect_b32 s1, s1, s21
	s_cselect_b32 s0, s0, s23
	s_cbranch_execnz .LBB0_6
	s_branch .LBB0_10
.LBB0_9:                                ;   in Loop: Header=BB0_7 Depth=1
                                        ; implicit-def: $sgpr0_sgpr1
.LBB0_10:                               ;   in Loop: Header=BB0_7 Depth=1
	v_cvt_f32_u32_e32 v1, s44
	s_sub_i32 s0, 0, s44
	v_rcp_iflag_f32_e32 v1, v1
	s_nop 0
	v_mul_f32_e32 v1, 0x4f7ffffe, v1
	v_cvt_u32_f32_e32 v1, v1
	s_nop 0
	v_readfirstlane_b32 s1, v1
	s_mul_i32 s0, s0, s1
	s_mul_hi_u32 s0, s1, s0
	s_add_i32 s1, s1, s0
	s_mul_hi_u32 s0, s24, s1
	s_mul_i32 s21, s0, s44
	s_sub_i32 s21, s24, s21
	s_add_i32 s1, s0, 1
	s_sub_i32 s23, s21, s44
	s_cmp_ge_u32 s21, s44
	s_cselect_b32 s0, s1, s0
	s_cselect_b32 s21, s23, s21
	s_add_i32 s1, s0, 1
	s_cmp_ge_u32 s21, s44
	s_cselect_b32 s0, s1, s0
	s_mov_b32 s1, s42
	s_branch .LBB0_6
.LBB0_11:
	v_mov_b64_e32 v[4:5], s[30:31]
	v_cmp_lt_u64_e32 vcc, s[2:3], v[4:5]
	s_mov_b64 s[24:25], 0
	s_cbranch_vccnz .LBB0_13
; %bb.12:
	v_cvt_f32_u32_e32 v1, s30
	s_sub_i32 s0, 0, s30
	v_rcp_iflag_f32_e32 v1, v1
	s_nop 0
	v_mul_f32_e32 v1, 0x4f7ffffe, v1
	v_cvt_u32_f32_e32 v1, v1
	s_nop 0
	v_readfirstlane_b32 s1, v1
	s_mul_i32 s0, s0, s1
	s_mul_hi_u32 s0, s1, s0
	s_add_i32 s1, s1, s0
	s_mul_hi_u32 s0, s2, s1
	s_mul_i32 s3, s0, s30
	s_sub_i32 s2, s2, s3
	s_add_i32 s1, s0, 1
	s_sub_i32 s3, s2, s30
	s_cmp_ge_u32 s2, s30
	s_cselect_b32 s0, s1, s0
	s_cselect_b32 s2, s3, s2
	s_add_i32 s1, s0, 1
	s_cmp_ge_u32 s2, s30
	s_cselect_b32 s24, s1, s0
.LBB0_13:
	s_lshl_b64 s[0:1], s[6:7], 3
	s_add_u32 s2, s10, s0
	s_addc_u32 s3, s11, s1
	s_load_dwordx2 s[2:3], s[2:3], 0x0
	v_and_b32_e32 v52, 15, v0
	v_or_b32_e32 v32, s34, v52
	v_mov_b32_e32 v33, s35
	v_mov_b32_e32 v5, 0
	s_waitcnt lgkmcnt(0)
	s_mul_i32 s3, s3, s24
	s_mul_hi_u32 s6, s2, s24
	s_add_i32 s3, s6, s3
	s_add_u32 s6, s28, s0
	s_addc_u32 s7, s29, s1
	s_mul_i32 s2, s2, s24
	s_add_u32 s0, s34, 16
	v_lshl_add_u64 v[8:9], s[2:3], 0, v[2:3]
	s_addc_u32 s1, s35, 0
	v_mov_b64_e32 v[2:3], s[26:27]
	v_cmp_le_u64_e32 vcc, s[0:1], v[2:3]
	v_mad_u64_u32 v[10:11], s[0:1], s22, v52, 0
	s_movk_i32 s0, 0x80
	s_movk_i32 s1, 0x7f
	v_cmp_lt_u32_e64 s[2:3], s1, v0
	v_cmp_gt_u32_e64 s[0:1], s0, v0
	s_or_b64 s[2:3], s[2:3], vcc
	v_lshrrev_b32_e32 v1, 4, v0
	v_cndmask_b32_e64 v2, 0, 1, s[0:1]
	v_cmp_gt_u64_e64 s[0:1], s[26:27], v[32:33]
	s_nop 1
	v_cndmask_b32_e64 v3, 0, 1, s[0:1]
	v_cndmask_b32_e64 v2, v3, v2, s[2:3]
	v_and_b32_e32 v2, 1, v2
	v_cmp_eq_u32_e64 s[2:3], 1, v2
	v_mov_b32_e32 v2, 0
	v_mov_b32_e32 v3, 0
	s_and_saveexec_b64 s[8:9], s[2:3]
	s_cbranch_execz .LBB0_15
; %bb.14:
	v_mul_lo_u32 v2, s20, v1
	v_add3_u32 v4, v8, v10, v2
	v_lshl_add_u64 v[2:3], v[4:5], 3, s[16:17]
	global_load_dwordx2 v[2:3], v[2:3], off
.LBB0_15:
	s_or_b64 exec, exec, s[8:9]
	v_mov_b32_e32 v7, 0
	s_and_saveexec_b64 s[8:9], s[2:3]
	s_cbranch_execz .LBB0_17
; %bb.16:
	v_add_u32_e32 v4, 8, v1
	v_mul_lo_u32 v4, s20, v4
	v_add3_u32 v4, v8, v10, v4
	v_mov_b32_e32 v5, 0
	v_lshl_add_u64 v[4:5], v[4:5], 3, s[16:17]
	global_load_dwordx2 v[6:7], v[4:5], off
	s_waitcnt vmcnt(0)
	v_mov_b32_e32 v5, v6
.LBB0_17:
	s_or_b64 exec, exec, s[8:9]
	v_mov_b32_e32 v12, 0
	v_mov_b32_e32 v14, 0
	v_mov_b32_e32 v15, 0
	s_and_saveexec_b64 s[8:9], s[2:3]
	s_cbranch_execz .LBB0_19
; %bb.18:
	v_or_b32_e32 v4, 16, v1
	v_mul_lo_u32 v4, s20, v4
	v_add3_u32 v14, v8, v10, v4
	v_mov_b32_e32 v15, 0
	v_lshl_add_u64 v[14:15], v[14:15], 3, s[16:17]
	global_load_dwordx2 v[14:15], v[14:15], off
.LBB0_19:
	s_or_b64 exec, exec, s[8:9]
	v_mov_b32_e32 v13, 0
	s_and_saveexec_b64 s[8:9], s[2:3]
	s_cbranch_execz .LBB0_21
; %bb.20:
	v_add_u32_e32 v4, 24, v1
	v_mul_lo_u32 v4, s20, v4
	v_add3_u32 v12, v8, v10, v4
	v_mov_b32_e32 v13, 0
	v_lshl_add_u64 v[12:13], v[12:13], 3, s[16:17]
	global_load_dwordx2 v[12:13], v[12:13], off
.LBB0_21:
	s_or_b64 exec, exec, s[8:9]
	v_mov_b32_e32 v16, 0
	v_mov_b32_e32 v18, 0
	v_mov_b32_e32 v19, 0
	s_and_saveexec_b64 s[8:9], s[2:3]
	s_cbranch_execz .LBB0_23
; %bb.22:
	v_or_b32_e32 v4, 32, v1
	v_mul_lo_u32 v4, s20, v4
	v_add3_u32 v18, v8, v10, v4
	v_mov_b32_e32 v19, 0
	v_lshl_add_u64 v[18:19], v[18:19], 3, s[16:17]
	global_load_dwordx2 v[18:19], v[18:19], off
.LBB0_23:
	s_or_b64 exec, exec, s[8:9]
	v_mov_b32_e32 v17, 0
	s_and_saveexec_b64 s[8:9], s[2:3]
	s_cbranch_execz .LBB0_25
; %bb.24:
	v_add_u32_e32 v4, 40, v1
	v_mul_lo_u32 v4, s20, v4
	v_add3_u32 v16, v8, v10, v4
	v_mov_b32_e32 v17, 0
	v_lshl_add_u64 v[16:17], v[16:17], 3, s[16:17]
	global_load_dwordx2 v[16:17], v[16:17], off
.LBB0_25:
	;; [unrolled: 26-line block ×5, first 2 shown]
	s_or_b64 exec, exec, s[8:9]
	v_mov_b32_e32 v36, 0
	v_mov_b32_e32 v37, 0
	s_and_saveexec_b64 s[8:9], s[2:3]
	s_cbranch_execz .LBB0_39
; %bb.38:
	v_or_b32_e32 v4, 0x60, v1
	v_mul_lo_u32 v4, s20, v4
	v_add3_u32 v8, v8, v10, v4
	v_mov_b32_e32 v9, 0
	v_lshl_add_u64 v[8:9], v[8:9], 3, s[16:17]
	global_load_dwordx2 v[36:37], v[8:9], off
.LBB0_39:
	s_or_b64 exec, exec, s[8:9]
	s_movk_i32 s2, 0x80
	v_cmp_gt_u32_e64 s[2:3], s2, v0
	v_lshlrev_b32_e32 v33, 3, v52
	s_and_saveexec_b64 s[8:9], s[2:3]
	s_cbranch_execz .LBB0_41
; %bb.40:
	v_mov_b32_e32 v6, v5
	s_waitcnt vmcnt(0)
	v_pk_add_f32 v[4:5], v[2:3], v[6:7]
	v_pk_add_f32 v[54:55], v[6:7], v[36:37] neg_lo:[0,1] neg_hi:[0,1]
	v_pk_add_f32 v[4:5], v[4:5], v[14:15]
	s_mov_b32 s2, 0xbeedf032
	v_pk_add_f32 v[4:5], v[4:5], v[12:13]
	v_pk_add_f32 v[56:57], v[6:7], v[36:37]
	;; [unrolled: 1-line block ×3, first 2 shown]
	s_mov_b32 s16, 0x3f62ad3f
	v_pk_add_f32 v[4:5], v[4:5], v[16:17]
	v_pk_mul_f32 v[6:7], v[54:55], s[2:3] op_sel_hi:[1,0]
	v_pk_add_f32 v[4:5], v[4:5], v[22:23]
	v_mul_u32_u24_e32 v8, 0x680, v1
	v_pk_add_f32 v[4:5], v[4:5], v[20:21]
	v_pk_add_f32 v[58:59], v[14:15], v[34:35] neg_lo:[0,1] neg_hi:[0,1]
	v_pk_add_f32 v[4:5], v[4:5], v[24:25]
	s_mov_b32 s30, 0xbf52af12
	v_pk_add_f32 v[4:5], v[4:5], v[26:27]
	v_add3_u32 v53, 0, v8, v33
	v_pk_add_f32 v[4:5], v[4:5], v[28:29]
	v_pk_add_f32 v[60:61], v[14:15], v[34:35]
	;; [unrolled: 1-line block ×3, first 2 shown]
	s_mov_b32 s10, 0x3f116cb1
	v_pk_add_f32 v[38:39], v[4:5], v[36:37]
	v_pk_fma_f32 v[4:5], v[56:57], s[16:17], v[6:7] op_sel:[0,0,1] op_sel_hi:[1,0,0] neg_lo:[0,0,1] neg_hi:[0,0,1]
	v_pk_fma_f32 v[6:7], v[56:57], s[16:17], v[6:7] op_sel:[0,0,1] op_sel_hi:[1,0,0]
	v_mov_b32_e32 v8, v4
	v_mov_b32_e32 v9, v7
	v_pk_mul_f32 v[10:11], v[58:59], s[30:31] op_sel_hi:[1,0]
	v_pk_add_f32 v[62:63], v[12:13], v[28:29] neg_lo:[0,1] neg_hi:[0,1]
	v_pk_add_f32 v[64:65], v[12:13], v[28:29]
	v_pk_add_f32 v[12:13], v[2:3], v[8:9]
	v_pk_fma_f32 v[8:9], v[60:61], s[10:11], v[10:11] op_sel:[0,0,1] op_sel_hi:[1,0,0] neg_lo:[0,0,1] neg_hi:[0,0,1]
	v_pk_fma_f32 v[10:11], v[60:61], s[10:11], v[10:11] op_sel:[0,0,1] op_sel_hi:[1,0,0]
	v_mov_b32_e32 v14, v8
	v_mov_b32_e32 v15, v11
	s_mov_b32 s40, 0xbf7e222b
	v_pk_add_f32 v[70:71], v[16:17], v[24:25] neg_lo:[0,1] neg_hi:[0,1]
	v_pk_add_f32 v[72:73], v[16:17], v[24:25]
	v_pk_add_f32 v[16:17], v[14:15], v[12:13]
	s_mov_b32 s2, 0x3df6dbef
	v_pk_mul_f32 v[14:15], v[62:63], s[40:41] op_sel_hi:[1,0]
	v_pk_add_f32 v[66:67], v[18:19], v[26:27] neg_lo:[0,1] neg_hi:[0,1]
	v_pk_fma_f32 v[12:13], v[64:65], s[2:3], v[14:15] op_sel:[0,0,1] op_sel_hi:[1,0,0] neg_lo:[0,0,1] neg_hi:[0,0,1]
	v_pk_fma_f32 v[14:15], v[64:65], s[2:3], v[14:15] op_sel:[0,0,1] op_sel_hi:[1,0,0]
	v_pk_add_f32 v[68:69], v[18:19], v[26:27]
	v_mov_b32_e32 v18, v12
	v_mov_b32_e32 v19, v15
	s_mov_b32 s22, 0xbf6f5d39
	v_pk_add_f32 v[74:75], v[22:23], v[20:21] neg_lo:[0,1] neg_hi:[0,1]
	v_pk_add_f32 v[76:77], v[22:23], v[20:21]
	v_pk_add_f32 v[20:21], v[18:19], v[16:17]
	s_mov_b32 s20, 0xbeb58ec6
	v_pk_mul_f32 v[18:19], v[66:67], s[22:23] op_sel_hi:[1,0]
	s_mov_b32 s28, 0xbf29c268
	v_pk_fma_f32 v[16:17], v[68:69], s[20:21], v[18:19] op_sel:[0,0,1] op_sel_hi:[1,0,0] neg_lo:[0,0,1] neg_hi:[0,0,1]
	v_pk_fma_f32 v[18:19], v[68:69], s[20:21], v[18:19] op_sel:[0,0,1] op_sel_hi:[1,0,0]
	v_mov_b32_e32 v22, v16
	v_mov_b32_e32 v23, v19
	v_pk_add_f32 v[24:25], v[22:23], v[20:21]
	s_mov_b32 s26, 0xbf3f9e67
	v_pk_mul_f32 v[22:23], v[70:71], s[28:29] op_sel_hi:[1,0]
	s_mov_b32 s36, 0xbe750f2a
	v_pk_fma_f32 v[20:21], v[72:73], s[26:27], v[22:23] op_sel:[0,0,1] op_sel_hi:[1,0,0] neg_lo:[0,0,1] neg_hi:[0,0,1]
	v_pk_fma_f32 v[22:23], v[72:73], s[26:27], v[22:23] op_sel:[0,0,1] op_sel_hi:[1,0,0]
	v_mov_b32_e32 v26, v20
	v_mov_b32_e32 v27, v23
	;; [unrolled: 8-line block ×3, first 2 shown]
	v_pk_add_f32 v[28:29], v[34:35], v[28:29]
	v_pk_mul_f32 v[34:35], v[54:55], s[30:31] op_sel_hi:[1,0]
	ds_write2_b64 v53, v[38:39], v[28:29] offset1:16
	v_pk_fma_f32 v[28:29], v[56:57], s[10:11], v[34:35] op_sel:[0,0,1] op_sel_hi:[1,0,0] neg_lo:[0,0,1] neg_hi:[0,0,1]
	v_pk_fma_f32 v[34:35], v[56:57], s[10:11], v[34:35] op_sel:[0,0,1] op_sel_hi:[1,0,0]
	v_mov_b32_e32 v36, v28
	v_mov_b32_e32 v37, v35
	v_pk_mul_f32 v[38:39], v[58:59], s[22:23] op_sel_hi:[1,0]
	v_pk_add_f32 v[40:41], v[2:3], v[36:37]
	v_pk_fma_f32 v[36:37], v[60:61], s[20:21], v[38:39] op_sel:[0,0,1] op_sel_hi:[1,0,0] neg_lo:[0,0,1] neg_hi:[0,0,1]
	v_pk_fma_f32 v[38:39], v[60:61], s[20:21], v[38:39] op_sel:[0,0,1] op_sel_hi:[1,0,0]
	v_mov_b32_e32 v42, v36
	v_mov_b32_e32 v43, v39
	v_pk_add_f32 v[44:45], v[42:43], v[40:41]
	v_pk_mul_f32 v[42:43], v[62:63], s[36:37] op_sel_hi:[1,0]
	s_mov_b32 s38, 0x3f7e222b
	v_pk_fma_f32 v[40:41], v[64:65], s[34:35], v[42:43] op_sel:[0,0,1] op_sel_hi:[1,0,0] neg_lo:[0,0,1] neg_hi:[0,0,1]
	v_pk_fma_f32 v[42:43], v[64:65], s[34:35], v[42:43] op_sel:[0,0,1] op_sel_hi:[1,0,0]
	v_mov_b32_e32 v46, v40
	v_mov_b32_e32 v47, v43
	v_pk_add_f32 v[48:49], v[46:47], v[44:45]
	v_pk_mul_f32 v[46:47], v[66:67], s[44:45] op_sel_hi:[1,0]
	s_mov_b32 s42, 0x3eedf032
	v_pk_fma_f32 v[44:45], v[68:69], s[26:27], v[46:47] op_sel:[0,0,1] op_sel_hi:[1,0,0] neg_lo:[0,0,1] neg_hi:[0,0,1]
	v_pk_fma_f32 v[46:47], v[68:69], s[26:27], v[46:47] op_sel:[0,0,1] op_sel_hi:[1,0,0]
	v_mov_b32_e32 v50, v44
	v_mov_b32_e32 v51, v47
	v_pk_add_f32 v[78:79], v[50:51], v[48:49]
	v_pk_mul_f32 v[50:51], v[70:71], s[38:39] op_sel_hi:[1,0]
	v_pk_mul_f32 v[90:91], v[58:59], s[36:37] op_sel_hi:[1,0]
	v_pk_fma_f32 v[48:49], v[72:73], s[2:3], v[50:51] op_sel:[0,0,1] op_sel_hi:[1,0,0] neg_lo:[0,0,1] neg_hi:[0,0,1]
	v_pk_fma_f32 v[50:51], v[72:73], s[2:3], v[50:51] op_sel:[0,0,1] op_sel_hi:[1,0,0]
	v_mov_b32_e32 v80, v48
	v_mov_b32_e32 v81, v51
	v_pk_add_f32 v[78:79], v[80:81], v[78:79]
	v_pk_mul_f32 v[80:81], v[74:75], s[42:43] op_sel_hi:[1,0]
	v_pk_fma_f32 v[92:93], v[60:61], s[34:35], v[90:91] op_sel:[0,0,1] op_sel_hi:[1,0,0] neg_lo:[0,0,1] neg_hi:[0,0,1]
	v_pk_fma_f32 v[82:83], v[76:77], s[16:17], v[80:81] op_sel:[0,0,1] op_sel_hi:[1,0,0] neg_lo:[0,0,1] neg_hi:[0,0,1]
	v_pk_fma_f32 v[80:81], v[76:77], s[16:17], v[80:81] op_sel:[0,0,1] op_sel_hi:[1,0,0]
	v_mov_b32_e32 v84, v82
	v_mov_b32_e32 v85, v81
	v_pk_add_f32 v[78:79], v[84:85], v[78:79]
	v_pk_mul_f32 v[84:85], v[54:55], s[40:41] op_sel_hi:[1,0]
	v_pk_fma_f32 v[90:91], v[60:61], s[34:35], v[90:91] op_sel:[0,0,1] op_sel_hi:[1,0,0]
	v_pk_fma_f32 v[86:87], v[56:57], s[2:3], v[84:85] op_sel:[0,0,1] op_sel_hi:[1,0,0] neg_lo:[0,0,1] neg_hi:[0,0,1]
	v_pk_fma_f32 v[84:85], v[56:57], s[2:3], v[84:85] op_sel:[0,0,1] op_sel_hi:[1,0,0]
	v_mov_b32_e32 v88, v86
	v_mov_b32_e32 v89, v85
	v_pk_add_f32 v[88:89], v[2:3], v[88:89]
	v_mov_b32_e32 v94, v92
	v_mov_b32_e32 v95, v91
	s_mov_b32 s46, 0x3f6f5d39
	v_pk_add_f32 v[88:89], v[94:95], v[88:89]
	v_pk_mul_f32 v[94:95], v[62:63], s[46:47] op_sel_hi:[1,0]
	v_pk_mul_f32 v[112:113], v[58:59], s[44:45] op_sel_hi:[1,0]
	v_pk_fma_f32 v[96:97], v[64:65], s[20:21], v[94:95] op_sel:[0,0,1] op_sel_hi:[1,0,0] neg_lo:[0,0,1] neg_hi:[0,0,1]
	v_pk_fma_f32 v[94:95], v[64:65], s[20:21], v[94:95] op_sel:[0,0,1] op_sel_hi:[1,0,0]
	v_mov_b32_e32 v98, v96
	v_mov_b32_e32 v99, v95
	v_pk_add_f32 v[88:89], v[98:99], v[88:89]
	v_pk_mul_f32 v[98:99], v[66:67], s[42:43] op_sel_hi:[1,0]
	v_pk_fma_f32 v[114:115], v[60:61], s[26:27], v[112:113] op_sel:[0,0,1] op_sel_hi:[1,0,0] neg_lo:[0,0,1] neg_hi:[0,0,1]
	v_pk_fma_f32 v[100:101], v[68:69], s[16:17], v[98:99] op_sel:[0,0,1] op_sel_hi:[1,0,0] neg_lo:[0,0,1] neg_hi:[0,0,1]
	v_pk_fma_f32 v[98:99], v[68:69], s[16:17], v[98:99] op_sel:[0,0,1] op_sel_hi:[1,0,0]
	v_mov_b32_e32 v102, v100
	v_mov_b32_e32 v103, v99
	v_pk_add_f32 v[88:89], v[102:103], v[88:89]
	v_pk_mul_f32 v[102:103], v[70:71], s[30:31] op_sel_hi:[1,0]
	v_pk_fma_f32 v[112:113], v[60:61], s[26:27], v[112:113] op_sel:[0,0,1] op_sel_hi:[1,0,0]
	v_pk_fma_f32 v[104:105], v[72:73], s[10:11], v[102:103] op_sel:[0,0,1] op_sel_hi:[1,0,0] neg_lo:[0,0,1] neg_hi:[0,0,1]
	v_pk_fma_f32 v[102:103], v[72:73], s[10:11], v[102:103] op_sel:[0,0,1] op_sel_hi:[1,0,0]
	v_mov_b32_e32 v106, v104
	v_mov_b32_e32 v107, v103
	v_pk_add_f32 v[88:89], v[106:107], v[88:89]
	v_pk_mul_f32 v[106:107], v[74:75], s[28:29] op_sel_hi:[1,0]
	v_mov_b32_e32 v116, v114
	v_pk_fma_f32 v[108:109], v[76:77], s[26:27], v[106:107] op_sel:[0,0,1] op_sel_hi:[1,0,0] neg_lo:[0,0,1] neg_hi:[0,0,1]
	v_pk_fma_f32 v[106:107], v[76:77], s[26:27], v[106:107] op_sel:[0,0,1] op_sel_hi:[1,0,0]
	v_mov_b32_e32 v110, v108
	v_mov_b32_e32 v111, v107
	v_pk_add_f32 v[88:89], v[110:111], v[88:89]
	ds_write2_b64 v53, v[78:79], v[88:89] offset0:32 offset1:48
	v_pk_mul_f32 v[78:79], v[54:55], s[22:23] op_sel_hi:[1,0]
	v_mov_b32_e32 v117, v113
	v_pk_fma_f32 v[88:89], v[56:57], s[20:21], v[78:79] op_sel:[0,0,1] op_sel_hi:[1,0,0] neg_lo:[0,0,1] neg_hi:[0,0,1]
	v_pk_fma_f32 v[78:79], v[56:57], s[20:21], v[78:79] op_sel:[0,0,1] op_sel_hi:[1,0,0]
	v_mov_b32_e32 v110, v88
	v_mov_b32_e32 v111, v79
	v_pk_add_f32 v[110:111], v[2:3], v[110:111]
	s_mov_b32 s44, 0x3f52af12
	v_pk_add_f32 v[110:111], v[116:117], v[110:111]
	v_pk_mul_f32 v[116:117], v[62:63], s[42:43] op_sel_hi:[1,0]
	v_pk_mul_f32 v[138:139], v[58:59], s[38:39] op_sel_hi:[1,0]
	v_pk_fma_f32 v[118:119], v[64:65], s[16:17], v[116:117] op_sel:[0,0,1] op_sel_hi:[1,0,0] neg_lo:[0,0,1] neg_hi:[0,0,1]
	v_pk_fma_f32 v[116:117], v[64:65], s[16:17], v[116:117] op_sel:[0,0,1] op_sel_hi:[1,0,0]
	v_mov_b32_e32 v120, v118
	v_mov_b32_e32 v121, v117
	v_pk_add_f32 v[110:111], v[120:121], v[110:111]
	v_pk_mul_f32 v[120:121], v[66:67], s[40:41] op_sel_hi:[1,0]
	s_mov_b32 s40, 0x3e750f2a
	v_pk_fma_f32 v[122:123], v[68:69], s[2:3], v[120:121] op_sel:[0,0,1] op_sel_hi:[1,0,0] neg_lo:[0,0,1] neg_hi:[0,0,1]
	v_pk_fma_f32 v[120:121], v[68:69], s[2:3], v[120:121] op_sel:[0,0,1] op_sel_hi:[1,0,0]
	v_mov_b32_e32 v124, v122
	v_mov_b32_e32 v125, v121
	v_pk_add_f32 v[110:111], v[124:125], v[110:111]
	v_pk_mul_f32 v[124:125], v[70:71], s[40:41] op_sel_hi:[1,0]
	v_pk_fma_f32 v[140:141], v[60:61], s[2:3], v[138:139] op_sel:[0,0,1] op_sel_hi:[1,0,0] neg_lo:[0,0,1] neg_hi:[0,0,1]
	v_pk_fma_f32 v[126:127], v[72:73], s[34:35], v[124:125] op_sel:[0,0,1] op_sel_hi:[1,0,0] neg_lo:[0,0,1] neg_hi:[0,0,1]
	v_pk_fma_f32 v[124:125], v[72:73], s[34:35], v[124:125] op_sel:[0,0,1] op_sel_hi:[1,0,0]
	v_mov_b32_e32 v128, v126
	v_mov_b32_e32 v129, v125
	v_pk_add_f32 v[110:111], v[128:129], v[110:111]
	v_pk_mul_f32 v[128:129], v[74:75], s[44:45] op_sel_hi:[1,0]
	v_pk_fma_f32 v[138:139], v[60:61], s[2:3], v[138:139] op_sel:[0,0,1] op_sel_hi:[1,0,0]
	v_pk_fma_f32 v[130:131], v[76:77], s[10:11], v[128:129] op_sel:[0,0,1] op_sel_hi:[1,0,0] neg_lo:[0,0,1] neg_hi:[0,0,1]
	v_pk_fma_f32 v[128:129], v[76:77], s[10:11], v[128:129] op_sel:[0,0,1] op_sel_hi:[1,0,0]
	v_mov_b32_e32 v132, v130
	v_mov_b32_e32 v133, v129
	v_pk_add_f32 v[110:111], v[132:133], v[110:111]
	v_pk_mul_f32 v[132:133], v[54:55], s[28:29] op_sel_hi:[1,0]
	v_mov_b32_e32 v142, v140
	v_pk_fma_f32 v[134:135], v[56:57], s[26:27], v[132:133] op_sel:[0,0,1] op_sel_hi:[1,0,0] neg_lo:[0,0,1] neg_hi:[0,0,1]
	v_pk_fma_f32 v[132:133], v[56:57], s[26:27], v[132:133] op_sel:[0,0,1] op_sel_hi:[1,0,0]
	v_mov_b32_e32 v136, v134
	v_mov_b32_e32 v137, v133
	v_pk_add_f32 v[136:137], v[2:3], v[136:137]
	v_mov_b32_e32 v143, v139
	v_pk_add_f32 v[136:137], v[142:143], v[136:137]
	v_pk_mul_f32 v[142:143], v[62:63], s[30:31] op_sel_hi:[1,0]
	v_pk_mul_f32 v[54:55], v[54:55], s[36:37] op_sel_hi:[1,0]
	v_pk_fma_f32 v[144:145], v[64:65], s[10:11], v[142:143] op_sel:[0,0,1] op_sel_hi:[1,0,0] neg_lo:[0,0,1] neg_hi:[0,0,1]
	v_pk_fma_f32 v[142:143], v[64:65], s[10:11], v[142:143] op_sel:[0,0,1] op_sel_hi:[1,0,0]
	v_mov_b32_e32 v146, v144
	v_mov_b32_e32 v147, v143
	v_pk_add_f32 v[136:137], v[146:147], v[136:137]
	v_pk_mul_f32 v[146:147], v[66:67], s[40:41] op_sel_hi:[1,0]
	v_pk_mul_f32 v[62:63], v[62:63], s[28:29] op_sel_hi:[1,0]
	v_pk_fma_f32 v[148:149], v[68:69], s[34:35], v[146:147] op_sel:[0,0,1] op_sel_hi:[1,0,0] neg_lo:[0,0,1] neg_hi:[0,0,1]
	v_pk_fma_f32 v[146:147], v[68:69], s[34:35], v[146:147] op_sel:[0,0,1] op_sel_hi:[1,0,0]
	v_mov_b32_e32 v150, v148
	v_mov_b32_e32 v151, v147
	v_pk_add_f32 v[136:137], v[150:151], v[136:137]
	v_pk_mul_f32 v[150:151], v[70:71], s[42:43] op_sel_hi:[1,0]
	v_mov_b32_e32 v133, v135
	v_pk_fma_f32 v[152:153], v[72:73], s[16:17], v[150:151] op_sel:[0,0,1] op_sel_hi:[1,0,0] neg_lo:[0,0,1] neg_hi:[0,0,1]
	v_pk_fma_f32 v[150:151], v[72:73], s[16:17], v[150:151] op_sel:[0,0,1] op_sel_hi:[1,0,0]
	v_mov_b32_e32 v154, v152
	v_mov_b32_e32 v155, v151
	v_pk_add_f32 v[136:137], v[154:155], v[136:137]
	v_pk_mul_f32 v[154:155], v[74:75], s[22:23] op_sel_hi:[1,0]
	v_mov_b32_e32 v79, v89
	v_pk_fma_f32 v[156:157], v[76:77], s[20:21], v[154:155] op_sel:[0,0,1] op_sel_hi:[1,0,0] neg_lo:[0,0,1] neg_hi:[0,0,1]
	v_pk_fma_f32 v[154:155], v[76:77], s[20:21], v[154:155] op_sel:[0,0,1] op_sel_hi:[1,0,0]
	v_mov_b32_e32 v158, v156
	v_mov_b32_e32 v159, v155
	v_pk_add_f32 v[136:137], v[158:159], v[136:137]
	ds_write2_b64 v53, v[110:111], v[136:137] offset0:64 offset1:80
	v_pk_fma_f32 v[110:111], v[56:57], s[34:35], v[54:55] op_sel:[0,0,1] op_sel_hi:[1,0,0] neg_lo:[0,0,1] neg_hi:[0,0,1]
	v_pk_fma_f32 v[54:55], v[56:57], s[34:35], v[54:55] op_sel:[0,0,1] op_sel_hi:[1,0,0]
	v_pk_mul_f32 v[56:57], v[58:59], s[42:43] op_sel_hi:[1,0]
	v_mov_b32_e32 v139, v141
	v_pk_fma_f32 v[58:59], v[60:61], s[16:17], v[56:57] op_sel:[0,0,1] op_sel_hi:[1,0,0] neg_lo:[0,0,1] neg_hi:[0,0,1]
	v_pk_fma_f32 v[56:57], v[60:61], s[16:17], v[56:57] op_sel:[0,0,1] op_sel_hi:[1,0,0]
	v_mov_b32_e32 v60, v110
	v_mov_b32_e32 v61, v55
	v_pk_add_f32 v[60:61], v[2:3], v[60:61]
	v_mov_b32_e32 v136, v58
	v_mov_b32_e32 v137, v57
	v_pk_add_f32 v[60:61], v[136:137], v[60:61]
	v_pk_fma_f32 v[136:137], v[64:65], s[26:27], v[62:63] op_sel:[0,0,1] op_sel_hi:[1,0,0] neg_lo:[0,0,1] neg_hi:[0,0,1]
	v_pk_fma_f32 v[62:63], v[64:65], s[26:27], v[62:63] op_sel:[0,0,1] op_sel_hi:[1,0,0]
	v_mov_b32_e32 v64, v136
	v_mov_b32_e32 v65, v63
	v_pk_add_f32 v[60:61], v[64:65], v[60:61]
	v_pk_mul_f32 v[64:65], v[66:67], s[44:45] op_sel_hi:[1,0]
	v_mov_b32_e32 v55, v111
	v_pk_fma_f32 v[66:67], v[68:69], s[10:11], v[64:65] op_sel:[0,0,1] op_sel_hi:[1,0,0] neg_lo:[0,0,1] neg_hi:[0,0,1]
	v_pk_fma_f32 v[64:65], v[68:69], s[10:11], v[64:65] op_sel:[0,0,1] op_sel_hi:[1,0,0]
	v_mov_b32_e32 v68, v66
	v_mov_b32_e32 v69, v65
	v_pk_add_f32 v[60:61], v[68:69], v[60:61]
	v_pk_mul_f32 v[68:69], v[70:71], s[22:23] op_sel_hi:[1,0]
	v_mov_b32_e32 v57, v59
	v_pk_fma_f32 v[70:71], v[72:73], s[20:21], v[68:69] op_sel:[0,0,1] op_sel_hi:[1,0,0] neg_lo:[0,0,1] neg_hi:[0,0,1]
	v_pk_fma_f32 v[68:69], v[72:73], s[20:21], v[68:69] op_sel:[0,0,1] op_sel_hi:[1,0,0]
	v_pk_add_f32 v[54:55], v[2:3], v[54:55]
	v_mov_b32_e32 v72, v70
	v_mov_b32_e32 v73, v69
	v_pk_add_f32 v[54:55], v[56:57], v[54:55]
	v_mov_b32_e32 v63, v137
	v_pk_add_f32 v[60:61], v[72:73], v[60:61]
	v_pk_mul_f32 v[72:73], v[74:75], s[38:39] op_sel_hi:[1,0]
	v_pk_add_f32 v[54:55], v[62:63], v[54:55]
	v_mov_b32_e32 v65, v67
	v_pk_fma_f32 v[74:75], v[76:77], s[2:3], v[72:73] op_sel:[0,0,1] op_sel_hi:[1,0,0] neg_lo:[0,0,1] neg_hi:[0,0,1]
	v_pk_fma_f32 v[72:73], v[76:77], s[2:3], v[72:73] op_sel:[0,0,1] op_sel_hi:[1,0,0]
	v_pk_add_f32 v[54:55], v[64:65], v[54:55]
	v_mov_b32_e32 v69, v71
	v_mov_b32_e32 v76, v74
	;; [unrolled: 1-line block ×3, first 2 shown]
	v_pk_add_f32 v[54:55], v[68:69], v[54:55]
	v_mov_b32_e32 v73, v75
	v_pk_add_f32 v[60:61], v[76:77], v[60:61]
	v_pk_add_f32 v[54:55], v[72:73], v[54:55]
	ds_write2_b64 v53, v[60:61], v[54:55] offset0:96 offset1:112
	v_pk_add_f32 v[54:55], v[2:3], v[132:133]
	v_mov_b32_e32 v113, v115
	v_pk_add_f32 v[56:57], v[2:3], v[78:79]
	v_pk_add_f32 v[54:55], v[138:139], v[54:55]
	v_mov_b32_e32 v143, v145
	v_pk_add_f32 v[56:57], v[112:113], v[56:57]
	v_mov_b32_e32 v117, v119
	;; [unrolled: 2-line block ×8, first 2 shown]
	v_pk_add_f32 v[54:55], v[154:155], v[54:55]
	v_pk_add_f32 v[56:57], v[128:129], v[56:57]
	v_mov_b32_e32 v85, v87
	v_mov_b32_e32 v35, v29
	;; [unrolled: 1-line block ×3, first 2 shown]
	ds_write2_b64 v53, v[54:55], v[56:57] offset0:128 offset1:144
	v_mov_b32_e32 v91, v93
	v_pk_add_f32 v[54:55], v[2:3], v[84:85]
	v_pk_add_f32 v[28:29], v[2:3], v[34:35]
	v_mov_b32_e32 v39, v37
	v_pk_add_f32 v[2:3], v[2:3], v[6:7]
	v_mov_b32_e32 v11, v9
	;; [unrolled: 2-line block ×14, first 2 shown]
	v_pk_add_f32 v[54:55], v[106:107], v[54:55]
	v_pk_add_f32 v[28:29], v[80:81], v[28:29]
	;; [unrolled: 1-line block ×3, first 2 shown]
	ds_write2_b64 v53, v[54:55], v[28:29] offset0:160 offset1:176
	ds_write_b64 v53, v[2:3] offset:1536
.LBB0_41:
	s_or_b64 exec, exec, s[8:9]
	s_or_b64 s[0:1], vcc, s[0:1]
	s_waitcnt lgkmcnt(0)
	s_barrier
	s_and_saveexec_b64 s[2:3], s[0:1]
	s_cbranch_execz .LBB0_43
; %bb.42:
	s_mov_b32 s2, 0x13b13b14
	s_waitcnt vmcnt(0)
	v_mul_hi_u32 v2, v1, s2
	v_mul_u32_u24_e32 v2, 13, v2
	v_sub_u32_e32 v53, v1, v2
	v_lshlrev_b32_e32 v1, 7, v1
	v_add3_u32 v1, 0, v1, v33
	s_load_dwordx2 s[0:1], s[6:7], 0x0
	v_mul_u32_u24_e32 v2, 7, v53
	v_add_u32_e32 v6, 0x1a00, v1
	v_lshlrev_b32_e32 v26, 3, v2
	ds_read2_b64 v[2:5], v1 offset1:208
	ds_read2_b64 v[14:17], v6 offset1:208
	v_add_u32_e32 v6, 0xc00, v1
	v_add_u32_e32 v1, 0x2600, v1
	ds_read2_b64 v[10:13], v6 offset0:32 offset1:240
	global_load_dwordx2 v[36:37], v26, s[4:5] offset:48
	global_load_dwordx4 v[6:9], v26, s[4:5] offset:32
	global_load_dwordx4 v[22:25], v26, s[4:5] offset:16
	global_load_dwordx4 v[18:21], v26, s[4:5]
	ds_read2_b64 v[26:29], v1 offset0:32 offset1:240
	v_add_u32_e32 v1, 0x5b, v53
	v_mul_lo_u32 v1, v1, v32
	v_and_b32_e32 v34, 63, v1
	s_waitcnt lgkmcnt(0)
	s_mul_i32 s1, s1, s24
	s_mul_hi_u32 s2, s0, s24
	v_lshrrev_b32_e32 v33, 9, v1
	v_lshl_add_u32 v38, v34, 3, 0
	v_lshrrev_b32_e32 v34, 3, v1
	s_add_i32 s1, s2, s1
	s_add_i32 s2, 0, 0x3400
	v_and_b32_e32 v33, 0x1f8, v33
	v_and_b32_e32 v34, 0x1f8, v34
	v_add_u32_e32 v33, s2, v33
	v_add_u32_e32 v40, s2, v34
	v_mul_lo_u32 v56, v32, -13
	ds_read_b64 v[34:35], v33 offset:1024
	ds_read_b64 v[38:39], v38 offset:13312
	;; [unrolled: 1-line block ×3, first 2 shown]
	v_add_u32_e32 v44, v1, v56
	v_lshrrev_b32_e32 v1, 9, v44
	v_and_b32_e32 v1, 0x1f8, v1
	v_add_u32_e32 v1, s2, v1
	ds_read_b64 v[42:43], v1 offset:1024
	s_waitcnt lgkmcnt(1)
	v_mul_f32_e32 v1, v39, v41
	v_mul_f32_e32 v63, v39, v40
	v_lshrrev_b32_e32 v39, 3, v44
	v_and_b32_e32 v39, 0x1f8, v39
	v_add_u32_e32 v48, v44, v56
	v_mul_f32_e32 v62, v38, v40
	v_mul_f32_e32 v33, v38, v41
	v_and_b32_e32 v38, 63, v44
	v_add_u32_e32 v40, s2, v39
	v_lshrrev_b32_e32 v39, 9, v48
	v_lshl_add_u32 v38, v38, 3, 0
	v_and_b32_e32 v39, 0x1f8, v39
	v_add_u32_e32 v44, s2, v39
	ds_read_b64 v[38:39], v38 offset:13312
	ds_read_b64 v[40:41], v40 offset:512
	v_and_b32_e32 v45, 63, v48
	v_lshl_add_u32 v46, v45, 3, 0
	ds_read_b64 v[44:45], v44 offset:1024
	ds_read_b64 v[46:47], v46 offset:13312
	v_mul_lo_u32 v32, v53, v32
	s_waitcnt lgkmcnt(2)
	v_mul_f32_e32 v49, v38, v40
	v_fma_f32 v49, -v39, v41, v49
	v_pk_mul_f32 v[38:39], v[38:39], v[40:41] op_sel:[1,0] op_sel_hi:[0,1]
	v_add_f32_e32 v39, v38, v39
	v_mul_f32_e32 v38, v39, v43
	v_mul_f32_e32 v40, v49, v43
	v_add_u32_e32 v41, v48, v56
	v_fma_f32 v38, v42, v49, -v38
	v_fmac_f32_e32 v40, v42, v39
	v_lshrrev_b32_e32 v42, 9, v41
	v_lshrrev_b32_e32 v39, 3, v48
	v_and_b32_e32 v42, 0x1f8, v42
	v_and_b32_e32 v39, 0x1f8, v39
	v_add_u32_e32 v48, s2, v42
	v_and_b32_e32 v42, 63, v41
	v_add_u32_e32 v39, s2, v39
	v_lshl_add_u32 v50, v42, 3, 0
	v_lshrrev_b32_e32 v42, 3, v41
	v_and_b32_e32 v49, 0x1f8, v42
	ds_read_b64 v[42:43], v39 offset:512
	v_add_u32_e32 v39, s2, v49
	ds_read_b64 v[48:49], v48 offset:1024
	ds_read_b64 v[50:51], v50 offset:13312
	;; [unrolled: 1-line block ×3, first 2 shown]
	v_add_u32_e32 v41, v41, v56
	s_mul_i32 s0, s0, s24
	s_waitcnt lgkmcnt(3)
	v_mul_f32_e32 v39, v47, v43
	v_mul_f32_e32 v43, v46, v43
	v_fmac_f32_e32 v43, v47, v42
	v_fma_f32 v39, v46, v42, -v39
	v_mul_f32_e32 v42, v43, v45
	v_fma_f32 v64, v44, v39, -v42
	v_mul_f32_e32 v39, v39, v45
	s_waitcnt lgkmcnt(0)
	v_mul_f32_e32 v42, v51, v55
	v_fmac_f32_e32 v39, v44, v43
	v_fma_f32 v42, v50, v54, -v42
	v_mul_f32_e32 v43, v50, v55
	v_fmac_f32_e32 v43, v51, v54
	v_mul_f32_e32 v66, v42, v49
	v_mul_f32_e32 v44, v43, v49
	v_fmac_f32_e32 v66, v48, v43
	v_and_b32_e32 v43, 63, v41
	v_fma_f32 v65, v48, v42, -v44
	v_lshrrev_b32_e32 v42, 9, v41
	v_lshl_add_u32 v44, v43, 3, 0
	v_lshrrev_b32_e32 v43, 3, v41
	v_and_b32_e32 v42, 0x1f8, v42
	v_and_b32_e32 v43, 0x1f8, v43
	v_add_u32_e32 v42, s2, v42
	v_add_u32_e32 v46, s2, v43
	ds_read_b64 v[42:43], v42 offset:1024
	ds_read_b64 v[44:45], v44 offset:13312
	;; [unrolled: 1-line block ×3, first 2 shown]
	v_add_u32_e32 v41, v41, v56
	v_lshrrev_b32_e32 v48, 9, v41
	v_and_b32_e32 v48, 0x1f8, v48
	v_add_u32_e32 v48, s2, v48
	s_waitcnt lgkmcnt(0)
	v_mul_f32_e32 v50, v45, v47
	v_fma_f32 v50, v44, v46, -v50
	v_mul_f32_e32 v44, v44, v47
	v_fmac_f32_e32 v44, v45, v46
	v_mul_f32_e32 v45, v44, v43
	v_mul_f32_e32 v68, v50, v43
	v_lshrrev_b32_e32 v43, 3, v41
	v_fma_f32 v67, v42, v50, -v45
	v_fmac_f32_e32 v68, v42, v44
	v_and_b32_e32 v42, 63, v41
	v_and_b32_e32 v43, 0x1f8, v43
	v_add_u32_e32 v41, v41, v56
	v_add_u32_e32 v44, s2, v43
	v_lshrrev_b32_e32 v43, 9, v41
	v_lshl_add_u32 v42, v42, 3, 0
	v_and_b32_e32 v43, 0x1f8, v43
	ds_read_b64 v[48:49], v48 offset:1024
	v_add_u32_e32 v46, s2, v43
	ds_read_b64 v[42:43], v42 offset:13312
	ds_read_b64 v[44:45], v44 offset:512
	v_and_b32_e32 v47, 63, v41
	v_lshrrev_b32_e32 v41, 3, v41
	v_and_b32_e32 v41, 0x1f8, v41
	v_lshl_add_u32 v50, v47, 3, 0
	s_waitcnt lgkmcnt(0)
	v_mul_f32_e32 v54, v43, v45
	v_fma_f32 v54, v42, v44, -v54
	v_mul_f32_e32 v42, v42, v45
	v_fmac_f32_e32 v42, v43, v44
	v_mul_f32_e32 v70, v54, v49
	v_mul_f32_e32 v43, v42, v49
	v_fmac_f32_e32 v70, v48, v42
	v_lshrrev_b32_e32 v42, 9, v32
	v_and_b32_e32 v42, 0x1f8, v42
	v_add_u32_e32 v41, s2, v41
	v_add_u32_e32 v44, s2, v42
	v_and_b32_e32 v42, 63, v32
	ds_read_b64 v[46:47], v46 offset:1024
	ds_read_b64 v[50:51], v50 offset:13312
	v_fma_f32 v69, v48, v54, -v43
	v_lshl_add_u32 v48, v42, 3, 0
	ds_read_b64 v[42:43], v41 offset:512
	v_lshrrev_b32_e32 v32, 3, v32
	v_and_b32_e32 v32, 0x1f8, v32
	v_add_u32_e32 v32, s2, v32
	ds_read_b64 v[44:45], v44 offset:1024
	ds_read_b64 v[48:49], v48 offset:13312
	;; [unrolled: 1-line block ×3, first 2 shown]
	s_waitcnt lgkmcnt(3)
	v_mul_f32_e32 v32, v51, v43
	v_fma_f32 v32, v50, v42, -v32
	v_mul_f32_e32 v41, v50, v43
	v_fmac_f32_e32 v41, v51, v42
	v_mul_f32_e32 v72, v32, v47
	v_mul_f32_e32 v42, v41, v47
	v_fmac_f32_e32 v72, v46, v41
	s_waitcnt lgkmcnt(0)
	v_mul_f32_e32 v41, v48, v55
	v_fma_f32 v71, v46, v32, -v42
	v_mul_f32_e32 v32, v49, v55
	v_fmac_f32_e32 v41, v49, v54
	v_fma_f32 v32, v48, v54, -v32
	v_mul_f32_e32 v42, v41, v45
	v_fma_f32 v73, v44, v32, -v42
	v_mad_u64_u32 v[42:43], s[2:3], s14, v52, 0
	v_mul_f32_e32 v74, v32, v45
	v_mov_b32_e32 v32, v43
	v_fmac_f32_e32 v74, v44, v41
	v_mad_u64_u32 v[44:45], s[2:3], s15, v52, v[32:33]
	s_mov_b32 s2, 0x13b13b2
	s_nop 0
	v_mul_hi_u32 v0, v0, s2
	s_movk_i32 s2, 0x68
	v_mad_u32_u24 v32, v0, s2, v53
	s_lshl_b64 s[0:1], s[0:1], 3
	v_mov_b32_e32 v43, v44
	v_mad_u64_u32 v[44:45], s[2:3], s12, v32, 0
	s_add_u32 s0, s18, s0
	v_mov_b32_e32 v0, v45
	s_addc_u32 s1, s19, s1
	v_lshlrev_b64 v[30:31], 3, v[30:31]
	v_mad_u64_u32 v[46:47], s[2:3], s13, v32, v[0:1]
	v_lshl_add_u64 v[30:31], s[0:1], 0, v[30:31]
	v_mov_b32_e32 v45, v46
	v_lshl_add_u64 v[30:31], v[42:43], 3, v[30:31]
	v_add_u32_e32 v41, 13, v32
	v_lshl_add_u64 v[42:43], v[44:45], 3, v[30:31]
	v_mad_u64_u32 v[44:45], s[0:1], s12, v41, 0
	v_mov_b32_e32 v0, v45
	v_mad_u64_u32 v[46:47], s[0:1], s13, v41, v[0:1]
	v_add_u32_e32 v41, 26, v32
	v_mov_b32_e32 v45, v46
	v_mad_u64_u32 v[46:47], s[0:1], s12, v41, 0
	v_mov_b32_e32 v0, v47
	v_mad_u64_u32 v[48:49], s[0:1], s13, v41, v[0:1]
	v_add_u32_e32 v41, 39, v32
	v_mov_b32_e32 v47, v48
	;; [unrolled: 5-line block ×6, first 2 shown]
	v_mad_u64_u32 v[56:57], s[0:1], s12, v32, 0
	v_mov_b32_e32 v0, v57
	v_mad_u64_u32 v[58:59], s[0:1], s13, v32, v[0:1]
	v_mov_b32_e32 v57, v58
	v_mov_b32_e32 v0, v5
	s_waitcnt vmcnt(0)
	v_pk_mul_f32 v[58:59], v[18:19], v[4:5] op_sel_hi:[1,0]
	v_lshl_add_u64 v[44:45], v[44:45], 3, v[30:31]
	v_pk_fma_f32 v[60:61], v[18:19], v[0:1], v[58:59] op_sel:[0,0,1] op_sel_hi:[1,1,0]
	v_pk_fma_f32 v[4:5], v[18:19], v[4:5], v[58:59] op_sel:[0,1,1] op_sel_hi:[1,1,0] neg_lo:[1,0,0] neg_hi:[1,0,0]
	v_mov_b32_e32 v0, v17
	v_mov_b32_e32 v61, v5
	v_pk_mul_f32 v[4:5], v[6:7], v[16:17] op_sel_hi:[1,0]
	v_lshl_add_u64 v[46:47], v[46:47], 3, v[30:31]
	v_pk_fma_f32 v[18:19], v[6:7], v[0:1], v[4:5] op_sel:[0,0,1] op_sel_hi:[1,1,0]
	v_pk_fma_f32 v[4:5], v[6:7], v[16:17], v[4:5] op_sel:[0,1,1] op_sel_hi:[1,1,0] neg_lo:[1,0,0] neg_hi:[1,0,0]
	v_pk_mul_f32 v[6:7], v[22:23], v[12:13] op_sel_hi:[1,0]
	v_mov_b32_e32 v19, v5
	v_pk_add_f32 v[4:5], v[60:61], v[18:19] neg_lo:[0,1] neg_hi:[0,1]
	v_mov_b32_e32 v18, v25
	v_mov_b32_e32 v19, v24
	;; [unrolled: 1-line block ×3, first 2 shown]
	v_pk_mul_f32 v[18:19], v[18:19], v[14:15] op_sel:[0,1]
	v_pk_fma_f32 v[16:17], v[22:23], v[0:1], v[6:7] op_sel:[0,0,1] op_sel_hi:[1,1,0]
	v_pk_fma_f32 v[6:7], v[22:23], v[12:13], v[6:7] op_sel:[0,1,1] op_sel_hi:[1,1,0] neg_lo:[1,0,0] neg_hi:[1,0,0]
	v_pk_fma_f32 v[22:23], v[24:25], v[14:15], v[18:19] neg_lo:[0,0,1] neg_hi:[0,0,1]
	v_pk_fma_f32 v[14:15], v[24:25], v[14:15], v[18:19] op_sel_hi:[1,0,1]
	v_pk_mul_f32 v[18:19], v[20:21], v[10:11] op_sel:[0,1]
	v_mov_b32_e32 v23, v15
	v_pk_add_f32 v[14:15], v[2:3], v[22:23] neg_lo:[0,1] neg_hi:[0,1]
	v_pk_fma_f32 v[22:23], v[20:21], v[10:11], v[18:19] op_sel:[0,0,1] op_sel_hi:[1,1,0] neg_lo:[0,0,1] neg_hi:[0,0,1]
	v_pk_fma_f32 v[10:11], v[20:21], v[10:11], v[18:19] op_sel:[0,0,1] op_sel_hi:[1,0,0]
	v_mov_b32_e32 v17, v7
	v_pk_mul_f32 v[6:7], v[28:29], v[36:37] op_sel_hi:[1,0]
	v_mov_b32_e32 v0, v37
	v_mov_b32_e32 v23, v11
	v_pk_mul_f32 v[10:11], v[26:27], v[8:9] op_sel:[1,0]
	v_pk_fma_f32 v[12:13], v[28:29], v[0:1], v[6:7] op_sel:[0,0,1] op_sel_hi:[1,1,0]
	v_pk_fma_f32 v[6:7], v[28:29], v[36:37], v[6:7] op_sel:[0,1,1] op_sel_hi:[1,1,0] neg_lo:[1,0,0] neg_hi:[1,0,0]
	v_pk_fma_f32 v[18:19], v[8:9], v[26:27], v[10:11] op_sel:[0,0,1] op_sel_hi:[1,1,0] neg_lo:[0,0,1] neg_hi:[0,0,1]
	v_pk_fma_f32 v[8:9], v[8:9], v[26:27], v[10:11] op_sel:[0,0,1] op_sel_hi:[1,0,0]
	v_mov_b32_e32 v13, v7
	v_mov_b32_e32 v19, v9
	v_pk_add_f32 v[6:7], v[16:17], v[12:13] neg_lo:[0,1] neg_hi:[0,1]
	v_pk_add_f32 v[8:9], v[22:23], v[18:19] neg_lo:[0,1] neg_hi:[0,1]
	v_pk_fma_f32 v[2:3], v[2:3], 2.0, v[14:15] op_sel_hi:[1,0,1] neg_lo:[0,0,1] neg_hi:[0,0,1]
	v_pk_fma_f32 v[18:19], v[22:23], 2.0, v[8:9] op_sel_hi:[1,0,1] neg_lo:[0,0,1] neg_hi:[0,0,1]
	;; [unrolled: 1-line block ×4, first 2 shown]
	v_pk_add_f32 v[18:19], v[2:3], v[18:19] neg_lo:[0,1] neg_hi:[0,1]
	v_pk_add_f32 v[16:17], v[20:21], v[16:17] neg_lo:[0,1] neg_hi:[0,1]
	v_mov_b32_e32 v0, v5
	v_pk_add_f32 v[22:23], v[18:19], v[16:17] neg_lo:[0,1] neg_hi:[0,1]
	v_pk_add_f32 v[24:25], v[18:19], v[16:17]
	v_pk_add_f32 v[12:13], v[0:1], v[6:7] neg_lo:[0,1] neg_hi:[0,1]
	v_mov_b32_e32 v0, v15
	v_mov_b32_e32 v26, v25
	;; [unrolled: 1-line block ×3, first 2 shown]
	v_fma_f32 v6, v2, 2.0, -v18
	v_fma_f32 v2, v21, 2.0, -v17
	v_pk_add_f32 v[10:11], v[0:1], v[8:9]
	v_mov_b32_e32 v24, v22
	v_pk_mul_f32 v[26:27], v[26:27], v[40:41] op_sel_hi:[1,0]
	v_fma_f32 v0, v3, 2.0, -v19
	v_fma_f32 v3, v20, 2.0, -v16
	v_sub_f32_e32 v8, v6, v2
	v_pk_fma_f32 v[28:29], v[22:23], v[38:39], v[26:27] neg_lo:[0,0,1] neg_hi:[0,0,1]
	v_pk_fma_f32 v[26:27], v[24:25], v[38:39], v[26:27] op_sel_hi:[1,0,1]
	v_fma_f32 v24, v5, 2.0, -v12
	v_sub_f32_e32 v5, v0, v3
	v_mul_f32_e32 v3, v8, v66
	v_fma_f32 v26, v15, 2.0, -v10
	v_fmac_f32_e32 v3, v5, v65
	v_mul_f32_e32 v2, v5, v66
	v_fma_f32 v15, v18, 2.0, -v22
	v_fma_f32 v0, v0, 2.0, -v5
	;; [unrolled: 1-line block ×4, first 2 shown]
	v_mul_f32_e32 v17, v15, v70
	v_mul_f32_e32 v19, v5, v74
	v_fmac_f32_e32 v17, v13, v69
	v_mul_f32_e32 v13, v13, v70
	v_fmac_f32_e32 v19, v0, v73
	v_mul_f32_e32 v0, v0, v74
	v_fma_f32 v16, v15, v69, -v13
	v_fma_f32 v18, v5, v73, -v0
	v_mov_b32_e32 v15, v62
	v_mov_b32_e32 v0, v9
	;; [unrolled: 1-line block ×4, first 2 shown]
	v_pk_add_f32 v[0:1], v[14:15], v[0:1] neg_lo:[0,1] neg_hi:[0,1]
	v_lshl_add_u64 v[48:49], v[48:49], 3, v[30:31]
	v_lshl_add_u64 v[50:51], v[50:51], 3, v[30:31]
	;; [unrolled: 1-line block ×5, first 2 shown]
	v_mov_b32_e32 v56, 0x3f3504f3
	v_mov_b32_e32 v57, v35
	v_pk_add_f32 v[6:7], v[4:5], v[32:33]
	v_mov_b32_e32 v13, v1
	v_mov_b32_e32 v5, v34
	v_fma_f32 v2, v8, v65, -v2
	global_store_dwordx2 v[42:43], v[18:19], off
	v_pk_fma_f32 v[18:19], v[6:7], v[56:57], v[10:11]
	v_pk_fma_f32 v[8:9], v[12:13], v[56:57], v[0:1]
	v_pk_mul_f32 v[20:21], v[4:5], v[0:1]
	v_mul_f32_e32 v19, v34, v7
	v_mov_b32_e32 v9, v21
	v_pk_fma_f32 v[8:9], v[6:7], v[56:57], v[8:9] neg_lo:[1,0,0] neg_hi:[1,0,0]
	v_pk_fma_f32 v[12:13], v[12:13], v[56:57], v[18:19]
	v_mov_b32_e32 v21, v8
	v_mov_b32_e32 v20, v13
	v_fma_f32 v1, v4, 2.0, -v6
	v_mov_b32_e32 v18, v9
	v_mov_b32_e32 v19, v12
	v_pk_mul_f32 v[20:21], v[12:13], v[20:21]
	v_fmamk_f32 v6, v1, 0xbf3504f3, v26
	v_fma_f32 v7, v14, 2.0, -v0
	v_pk_fma_f32 v[22:23], v[8:9], v[18:19], v[20:21] neg_lo:[0,0,1] neg_hi:[0,0,1]
	v_pk_fma_f32 v[18:19], v[8:9], v[18:19], v[20:21]
	v_fmac_f32_e32 v6, 0x3f3504f3, v24
	v_fmamk_f32 v9, v24, 0xbf3504f3, v7
	v_fma_f32 v10, v10, 2.0, -v12
	v_fmac_f32_e32 v9, 0xbf3504f3, v1
	v_mul_f32_e32 v1, v6, v39
	v_fma_f32 v0, v0, 2.0, -v8
	v_mul_f32_e32 v8, v10, v68
	v_mul_f32_e32 v5, v9, v39
	v_fma_f32 v4, v9, v64, -v1
	v_mul_f32_e32 v1, v0, v68
	v_fma_f32 v0, v0, v67, -v8
	v_fma_f32 v8, v7, 2.0, -v9
	v_fmac_f32_e32 v5, v6, v64
	v_fma_f32 v6, v26, 2.0, -v6
	v_mul_f32_e32 v7, v8, v72
	v_fmac_f32_e32 v7, v6, v71
	v_mul_f32_e32 v6, v6, v72
	v_fma_f32 v6, v8, v71, -v6
	v_mov_b32_e32 v29, v27
	v_mov_b32_e32 v23, v19
	v_fmac_f32_e32 v1, v10, v67
	global_store_dwordx2 v[44:45], v[6:7], off
	global_store_dwordx2 v[46:47], v[16:17], off
	;; [unrolled: 1-line block ×7, first 2 shown]
.LBB0_43:
	s_endpgm
	.section	.rodata,"a",@progbits
	.p2align	6, 0x0
	.amdhsa_kernel fft_rtc_fwd_len104_factors_13_8_wgs_208_tpt_13_sp_op_CI_CI_sbcc_twdbase6_3step_dirReg_intrinsicRead
		.amdhsa_group_segment_fixed_size 0
		.amdhsa_private_segment_fixed_size 0
		.amdhsa_kernarg_size 112
		.amdhsa_user_sgpr_count 2
		.amdhsa_user_sgpr_dispatch_ptr 0
		.amdhsa_user_sgpr_queue_ptr 0
		.amdhsa_user_sgpr_kernarg_segment_ptr 1
		.amdhsa_user_sgpr_dispatch_id 0
		.amdhsa_user_sgpr_kernarg_preload_length 0
		.amdhsa_user_sgpr_kernarg_preload_offset 0
		.amdhsa_user_sgpr_private_segment_size 0
		.amdhsa_uses_dynamic_stack 0
		.amdhsa_enable_private_segment 0
		.amdhsa_system_sgpr_workgroup_id_x 1
		.amdhsa_system_sgpr_workgroup_id_y 0
		.amdhsa_system_sgpr_workgroup_id_z 0
		.amdhsa_system_sgpr_workgroup_info 0
		.amdhsa_system_vgpr_workitem_id 0
		.amdhsa_next_free_vgpr 160
		.amdhsa_next_free_sgpr 49
		.amdhsa_accum_offset 160
		.amdhsa_reserve_vcc 1
		.amdhsa_float_round_mode_32 0
		.amdhsa_float_round_mode_16_64 0
		.amdhsa_float_denorm_mode_32 3
		.amdhsa_float_denorm_mode_16_64 3
		.amdhsa_dx10_clamp 1
		.amdhsa_ieee_mode 1
		.amdhsa_fp16_overflow 0
		.amdhsa_tg_split 0
		.amdhsa_exception_fp_ieee_invalid_op 0
		.amdhsa_exception_fp_denorm_src 0
		.amdhsa_exception_fp_ieee_div_zero 0
		.amdhsa_exception_fp_ieee_overflow 0
		.amdhsa_exception_fp_ieee_underflow 0
		.amdhsa_exception_fp_ieee_inexact 0
		.amdhsa_exception_int_div_zero 0
	.end_amdhsa_kernel
	.text
.Lfunc_end0:
	.size	fft_rtc_fwd_len104_factors_13_8_wgs_208_tpt_13_sp_op_CI_CI_sbcc_twdbase6_3step_dirReg_intrinsicRead, .Lfunc_end0-fft_rtc_fwd_len104_factors_13_8_wgs_208_tpt_13_sp_op_CI_CI_sbcc_twdbase6_3step_dirReg_intrinsicRead
                                        ; -- End function
	.section	.AMDGPU.csdata,"",@progbits
; Kernel info:
; codeLenInByte = 7016
; NumSgprs: 55
; NumVgprs: 160
; NumAgprs: 0
; TotalNumVgprs: 160
; ScratchSize: 0
; MemoryBound: 0
; FloatMode: 240
; IeeeMode: 1
; LDSByteSize: 0 bytes/workgroup (compile time only)
; SGPRBlocks: 6
; VGPRBlocks: 19
; NumSGPRsForWavesPerEU: 55
; NumVGPRsForWavesPerEU: 160
; AccumOffset: 160
; Occupancy: 3
; WaveLimiterHint : 1
; COMPUTE_PGM_RSRC2:SCRATCH_EN: 0
; COMPUTE_PGM_RSRC2:USER_SGPR: 2
; COMPUTE_PGM_RSRC2:TRAP_HANDLER: 0
; COMPUTE_PGM_RSRC2:TGID_X_EN: 1
; COMPUTE_PGM_RSRC2:TGID_Y_EN: 0
; COMPUTE_PGM_RSRC2:TGID_Z_EN: 0
; COMPUTE_PGM_RSRC2:TIDIG_COMP_CNT: 0
; COMPUTE_PGM_RSRC3_GFX90A:ACCUM_OFFSET: 39
; COMPUTE_PGM_RSRC3_GFX90A:TG_SPLIT: 0
	.text
	.p2alignl 6, 3212836864
	.fill 256, 4, 3212836864
	.type	__hip_cuid_3f25d57c4cb15233,@object ; @__hip_cuid_3f25d57c4cb15233
	.section	.bss,"aw",@nobits
	.globl	__hip_cuid_3f25d57c4cb15233
__hip_cuid_3f25d57c4cb15233:
	.byte	0                               ; 0x0
	.size	__hip_cuid_3f25d57c4cb15233, 1

	.ident	"AMD clang version 19.0.0git (https://github.com/RadeonOpenCompute/llvm-project roc-6.4.0 25133 c7fe45cf4b819c5991fe208aaa96edf142730f1d)"
	.section	".note.GNU-stack","",@progbits
	.addrsig
	.addrsig_sym __hip_cuid_3f25d57c4cb15233
	.amdgpu_metadata
---
amdhsa.kernels:
  - .agpr_count:     0
    .args:
      - .actual_access:  read_only
        .address_space:  global
        .offset:         0
        .size:           8
        .value_kind:     global_buffer
      - .address_space:  global
        .offset:         8
        .size:           8
        .value_kind:     global_buffer
      - .offset:         16
        .size:           8
        .value_kind:     by_value
      - .actual_access:  read_only
        .address_space:  global
        .offset:         24
        .size:           8
        .value_kind:     global_buffer
      - .actual_access:  read_only
        .address_space:  global
        .offset:         32
        .size:           8
        .value_kind:     global_buffer
      - .actual_access:  read_only
        .address_space:  global
        .offset:         40
        .size:           8
        .value_kind:     global_buffer
      - .offset:         48
        .size:           8
        .value_kind:     by_value
      - .actual_access:  read_only
        .address_space:  global
        .offset:         56
        .size:           8
        .value_kind:     global_buffer
      - .actual_access:  read_only
        .address_space:  global
        .offset:         64
        .size:           8
        .value_kind:     global_buffer
      - .offset:         72
        .size:           4
        .value_kind:     by_value
      - .actual_access:  read_only
        .address_space:  global
        .offset:         80
        .size:           8
        .value_kind:     global_buffer
      - .actual_access:  read_only
        .address_space:  global
        .offset:         88
        .size:           8
        .value_kind:     global_buffer
      - .actual_access:  read_only
        .address_space:  global
        .offset:         96
        .size:           8
        .value_kind:     global_buffer
      - .actual_access:  write_only
        .address_space:  global
        .offset:         104
        .size:           8
        .value_kind:     global_buffer
    .group_segment_fixed_size: 0
    .kernarg_segment_align: 8
    .kernarg_segment_size: 112
    .language:       OpenCL C
    .language_version:
      - 2
      - 0
    .max_flat_workgroup_size: 208
    .name:           fft_rtc_fwd_len104_factors_13_8_wgs_208_tpt_13_sp_op_CI_CI_sbcc_twdbase6_3step_dirReg_intrinsicRead
    .private_segment_fixed_size: 0
    .sgpr_count:     55
    .sgpr_spill_count: 0
    .symbol:         fft_rtc_fwd_len104_factors_13_8_wgs_208_tpt_13_sp_op_CI_CI_sbcc_twdbase6_3step_dirReg_intrinsicRead.kd
    .uniform_work_group_size: 1
    .uses_dynamic_stack: false
    .vgpr_count:     160
    .vgpr_spill_count: 0
    .wavefront_size: 64
amdhsa.target:   amdgcn-amd-amdhsa--gfx950
amdhsa.version:
  - 1
  - 2
...

	.end_amdgpu_metadata
